;; amdgpu-corpus repo=ROCm/rocFFT kind=compiled arch=gfx1201 opt=O3
	.text
	.amdgcn_target "amdgcn-amd-amdhsa--gfx1201"
	.amdhsa_code_object_version 6
	.protected	fft_rtc_fwd_len770_factors_11_10_7_wgs_220_tpt_110_sp_ip_CI_sbrr_dirReg ; -- Begin function fft_rtc_fwd_len770_factors_11_10_7_wgs_220_tpt_110_sp_ip_CI_sbrr_dirReg
	.globl	fft_rtc_fwd_len770_factors_11_10_7_wgs_220_tpt_110_sp_ip_CI_sbrr_dirReg
	.p2align	8
	.type	fft_rtc_fwd_len770_factors_11_10_7_wgs_220_tpt_110_sp_ip_CI_sbrr_dirReg,@function
fft_rtc_fwd_len770_factors_11_10_7_wgs_220_tpt_110_sp_ip_CI_sbrr_dirReg: ; @fft_rtc_fwd_len770_factors_11_10_7_wgs_220_tpt_110_sp_ip_CI_sbrr_dirReg
; %bb.0:
	s_clause 0x2
	s_load_b64 s[12:13], s[0:1], 0x18
	s_load_b128 s[4:7], s[0:1], 0x0
	s_load_b64 s[10:11], s[0:1], 0x50
	v_mul_u32_u24_e32 v1, 0x254, v0
	v_mov_b32_e32 v3, 0
	s_delay_alu instid0(VALU_DEP_2) | instskip(SKIP_2) | instid1(VALU_DEP_4)
	v_lshrrev_b32_e32 v26, 16, v1
	v_mov_b32_e32 v1, 0
	v_mov_b32_e32 v2, 0
	;; [unrolled: 1-line block ×3, first 2 shown]
	s_delay_alu instid0(VALU_DEP_4) | instskip(SKIP_3) | instid1(VALU_DEP_1)
	v_lshl_add_u32 v5, ttmp9, 1, v26
	s_wait_kmcnt 0x0
	s_load_b64 s[8:9], s[12:13], 0x0
	v_cmp_lt_u64_e64 s2, s[6:7], 2
	s_and_b32 vcc_lo, exec_lo, s2
	s_cbranch_vccnz .LBB0_8
; %bb.1:
	s_load_b64 s[2:3], s[0:1], 0x10
	v_mov_b32_e32 v1, 0
	v_mov_b32_e32 v2, 0
	s_add_nc_u64 s[14:15], s[12:13], 8
	s_mov_b64 s[16:17], 1
	s_wait_kmcnt 0x0
	s_add_nc_u64 s[18:19], s[2:3], 8
	s_mov_b32 s3, 0
.LBB0_2:                                ; =>This Inner Loop Header: Depth=1
	s_load_b64 s[20:21], s[18:19], 0x0
                                        ; implicit-def: $vgpr7_vgpr8
	s_mov_b32 s2, exec_lo
	s_wait_kmcnt 0x0
	v_or_b32_e32 v4, s21, v6
	s_delay_alu instid0(VALU_DEP_1)
	v_cmpx_ne_u64_e32 0, v[3:4]
	s_wait_alu 0xfffe
	s_xor_b32 s22, exec_lo, s2
	s_cbranch_execz .LBB0_4
; %bb.3:                                ;   in Loop: Header=BB0_2 Depth=1
	s_cvt_f32_u32 s2, s20
	s_cvt_f32_u32 s23, s21
	s_sub_nc_u64 s[26:27], 0, s[20:21]
	s_wait_alu 0xfffe
	s_delay_alu instid0(SALU_CYCLE_1) | instskip(SKIP_1) | instid1(SALU_CYCLE_2)
	s_fmamk_f32 s2, s23, 0x4f800000, s2
	s_wait_alu 0xfffe
	v_s_rcp_f32 s2, s2
	s_delay_alu instid0(TRANS32_DEP_1) | instskip(SKIP_1) | instid1(SALU_CYCLE_2)
	s_mul_f32 s2, s2, 0x5f7ffffc
	s_wait_alu 0xfffe
	s_mul_f32 s23, s2, 0x2f800000
	s_wait_alu 0xfffe
	s_delay_alu instid0(SALU_CYCLE_2) | instskip(SKIP_1) | instid1(SALU_CYCLE_2)
	s_trunc_f32 s23, s23
	s_wait_alu 0xfffe
	s_fmamk_f32 s2, s23, 0xcf800000, s2
	s_cvt_u32_f32 s25, s23
	s_wait_alu 0xfffe
	s_delay_alu instid0(SALU_CYCLE_1) | instskip(SKIP_1) | instid1(SALU_CYCLE_2)
	s_cvt_u32_f32 s24, s2
	s_wait_alu 0xfffe
	s_mul_u64 s[28:29], s[26:27], s[24:25]
	s_wait_alu 0xfffe
	s_mul_hi_u32 s31, s24, s29
	s_mul_i32 s30, s24, s29
	s_mul_hi_u32 s2, s24, s28
	s_mul_i32 s33, s25, s28
	s_wait_alu 0xfffe
	s_add_nc_u64 s[30:31], s[2:3], s[30:31]
	s_mul_hi_u32 s23, s25, s28
	s_mul_hi_u32 s34, s25, s29
	s_add_co_u32 s2, s30, s33
	s_wait_alu 0xfffe
	s_add_co_ci_u32 s2, s31, s23
	s_mul_i32 s28, s25, s29
	s_add_co_ci_u32 s29, s34, 0
	s_wait_alu 0xfffe
	s_add_nc_u64 s[28:29], s[2:3], s[28:29]
	s_wait_alu 0xfffe
	v_add_co_u32 v4, s2, s24, s28
	s_delay_alu instid0(VALU_DEP_1) | instskip(SKIP_1) | instid1(VALU_DEP_1)
	s_cmp_lg_u32 s2, 0
	s_add_co_ci_u32 s25, s25, s29
	v_readfirstlane_b32 s24, v4
	s_wait_alu 0xfffe
	s_delay_alu instid0(VALU_DEP_1)
	s_mul_u64 s[26:27], s[26:27], s[24:25]
	s_wait_alu 0xfffe
	s_mul_hi_u32 s29, s24, s27
	s_mul_i32 s28, s24, s27
	s_mul_hi_u32 s2, s24, s26
	s_mul_i32 s30, s25, s26
	s_wait_alu 0xfffe
	s_add_nc_u64 s[28:29], s[2:3], s[28:29]
	s_mul_hi_u32 s23, s25, s26
	s_mul_hi_u32 s24, s25, s27
	s_wait_alu 0xfffe
	s_add_co_u32 s2, s28, s30
	s_add_co_ci_u32 s2, s29, s23
	s_mul_i32 s26, s25, s27
	s_add_co_ci_u32 s27, s24, 0
	s_wait_alu 0xfffe
	s_add_nc_u64 s[26:27], s[2:3], s[26:27]
	s_wait_alu 0xfffe
	v_add_co_u32 v4, s2, v4, s26
	s_delay_alu instid0(VALU_DEP_1) | instskip(SKIP_1) | instid1(VALU_DEP_1)
	s_cmp_lg_u32 s2, 0
	s_add_co_ci_u32 s2, s25, s27
	v_mul_hi_u32 v13, v5, v4
	s_wait_alu 0xfffe
	v_mad_co_u64_u32 v[7:8], null, v5, s2, 0
	v_mad_co_u64_u32 v[9:10], null, v6, v4, 0
	;; [unrolled: 1-line block ×3, first 2 shown]
	s_delay_alu instid0(VALU_DEP_3) | instskip(SKIP_1) | instid1(VALU_DEP_4)
	v_add_co_u32 v4, vcc_lo, v13, v7
	s_wait_alu 0xfffd
	v_add_co_ci_u32_e32 v7, vcc_lo, 0, v8, vcc_lo
	s_delay_alu instid0(VALU_DEP_2) | instskip(SKIP_1) | instid1(VALU_DEP_2)
	v_add_co_u32 v4, vcc_lo, v4, v9
	s_wait_alu 0xfffd
	v_add_co_ci_u32_e32 v4, vcc_lo, v7, v10, vcc_lo
	s_wait_alu 0xfffd
	v_add_co_ci_u32_e32 v7, vcc_lo, 0, v12, vcc_lo
	s_delay_alu instid0(VALU_DEP_2) | instskip(SKIP_1) | instid1(VALU_DEP_2)
	v_add_co_u32 v4, vcc_lo, v4, v11
	s_wait_alu 0xfffd
	v_add_co_ci_u32_e32 v9, vcc_lo, 0, v7, vcc_lo
	s_delay_alu instid0(VALU_DEP_2) | instskip(SKIP_1) | instid1(VALU_DEP_3)
	v_mul_lo_u32 v10, s21, v4
	v_mad_co_u64_u32 v[7:8], null, s20, v4, 0
	v_mul_lo_u32 v11, s20, v9
	s_delay_alu instid0(VALU_DEP_2) | instskip(NEXT) | instid1(VALU_DEP_2)
	v_sub_co_u32 v7, vcc_lo, v5, v7
	v_add3_u32 v8, v8, v11, v10
	s_delay_alu instid0(VALU_DEP_1) | instskip(SKIP_1) | instid1(VALU_DEP_1)
	v_sub_nc_u32_e32 v10, v6, v8
	s_wait_alu 0xfffd
	v_subrev_co_ci_u32_e64 v10, s2, s21, v10, vcc_lo
	v_add_co_u32 v11, s2, v4, 2
	s_wait_alu 0xf1ff
	v_add_co_ci_u32_e64 v12, s2, 0, v9, s2
	v_sub_co_u32 v13, s2, v7, s20
	v_sub_co_ci_u32_e32 v8, vcc_lo, v6, v8, vcc_lo
	s_wait_alu 0xf1ff
	v_subrev_co_ci_u32_e64 v10, s2, 0, v10, s2
	s_delay_alu instid0(VALU_DEP_3) | instskip(NEXT) | instid1(VALU_DEP_3)
	v_cmp_le_u32_e32 vcc_lo, s20, v13
	v_cmp_eq_u32_e64 s2, s21, v8
	s_wait_alu 0xfffd
	v_cndmask_b32_e64 v13, 0, -1, vcc_lo
	v_cmp_le_u32_e32 vcc_lo, s21, v10
	s_wait_alu 0xfffd
	v_cndmask_b32_e64 v14, 0, -1, vcc_lo
	v_cmp_le_u32_e32 vcc_lo, s20, v7
	;; [unrolled: 3-line block ×3, first 2 shown]
	s_wait_alu 0xfffd
	v_cndmask_b32_e64 v15, 0, -1, vcc_lo
	v_cmp_eq_u32_e32 vcc_lo, s21, v10
	s_wait_alu 0xf1ff
	s_delay_alu instid0(VALU_DEP_2)
	v_cndmask_b32_e64 v7, v15, v7, s2
	s_wait_alu 0xfffd
	v_cndmask_b32_e32 v10, v14, v13, vcc_lo
	v_add_co_u32 v13, vcc_lo, v4, 1
	s_wait_alu 0xfffd
	v_add_co_ci_u32_e32 v14, vcc_lo, 0, v9, vcc_lo
	s_delay_alu instid0(VALU_DEP_3) | instskip(SKIP_2) | instid1(VALU_DEP_3)
	v_cmp_ne_u32_e32 vcc_lo, 0, v10
	s_wait_alu 0xfffd
	v_cndmask_b32_e32 v10, v13, v11, vcc_lo
	v_cndmask_b32_e32 v8, v14, v12, vcc_lo
	v_cmp_ne_u32_e32 vcc_lo, 0, v7
	s_wait_alu 0xfffd
	s_delay_alu instid0(VALU_DEP_2)
	v_dual_cndmask_b32 v7, v4, v10 :: v_dual_cndmask_b32 v8, v9, v8
.LBB0_4:                                ;   in Loop: Header=BB0_2 Depth=1
	s_wait_alu 0xfffe
	s_and_not1_saveexec_b32 s2, s22
	s_cbranch_execz .LBB0_6
; %bb.5:                                ;   in Loop: Header=BB0_2 Depth=1
	v_cvt_f32_u32_e32 v4, s20
	s_sub_co_i32 s22, 0, s20
	s_delay_alu instid0(VALU_DEP_1) | instskip(NEXT) | instid1(TRANS32_DEP_1)
	v_rcp_iflag_f32_e32 v4, v4
	v_mul_f32_e32 v4, 0x4f7ffffe, v4
	s_delay_alu instid0(VALU_DEP_1) | instskip(SKIP_1) | instid1(VALU_DEP_1)
	v_cvt_u32_f32_e32 v4, v4
	s_wait_alu 0xfffe
	v_mul_lo_u32 v7, s22, v4
	s_delay_alu instid0(VALU_DEP_1) | instskip(NEXT) | instid1(VALU_DEP_1)
	v_mul_hi_u32 v7, v4, v7
	v_add_nc_u32_e32 v4, v4, v7
	s_delay_alu instid0(VALU_DEP_1) | instskip(NEXT) | instid1(VALU_DEP_1)
	v_mul_hi_u32 v4, v5, v4
	v_mul_lo_u32 v7, v4, s20
	v_add_nc_u32_e32 v8, 1, v4
	s_delay_alu instid0(VALU_DEP_2) | instskip(NEXT) | instid1(VALU_DEP_1)
	v_sub_nc_u32_e32 v7, v5, v7
	v_subrev_nc_u32_e32 v9, s20, v7
	v_cmp_le_u32_e32 vcc_lo, s20, v7
	s_wait_alu 0xfffd
	s_delay_alu instid0(VALU_DEP_2) | instskip(NEXT) | instid1(VALU_DEP_1)
	v_dual_cndmask_b32 v7, v7, v9 :: v_dual_cndmask_b32 v4, v4, v8
	v_cmp_le_u32_e32 vcc_lo, s20, v7
	s_delay_alu instid0(VALU_DEP_2) | instskip(SKIP_1) | instid1(VALU_DEP_1)
	v_add_nc_u32_e32 v8, 1, v4
	s_wait_alu 0xfffd
	v_dual_cndmask_b32 v7, v4, v8 :: v_dual_mov_b32 v8, v3
.LBB0_6:                                ;   in Loop: Header=BB0_2 Depth=1
	s_wait_alu 0xfffe
	s_or_b32 exec_lo, exec_lo, s2
	s_load_b64 s[22:23], s[14:15], 0x0
	s_delay_alu instid0(VALU_DEP_1)
	v_mul_lo_u32 v4, v8, s20
	v_mul_lo_u32 v11, v7, s21
	v_mad_co_u64_u32 v[9:10], null, v7, s20, 0
	s_add_nc_u64 s[16:17], s[16:17], 1
	s_add_nc_u64 s[14:15], s[14:15], 8
	s_wait_alu 0xfffe
	v_cmp_ge_u64_e64 s2, s[16:17], s[6:7]
	s_add_nc_u64 s[18:19], s[18:19], 8
	s_delay_alu instid0(VALU_DEP_2) | instskip(NEXT) | instid1(VALU_DEP_3)
	v_add3_u32 v4, v10, v11, v4
	v_sub_co_u32 v5, vcc_lo, v5, v9
	s_wait_alu 0xfffd
	s_delay_alu instid0(VALU_DEP_2) | instskip(SKIP_3) | instid1(VALU_DEP_2)
	v_sub_co_ci_u32_e32 v4, vcc_lo, v6, v4, vcc_lo
	s_and_b32 vcc_lo, exec_lo, s2
	s_wait_kmcnt 0x0
	v_mul_lo_u32 v6, s23, v5
	v_mul_lo_u32 v4, s22, v4
	v_mad_co_u64_u32 v[1:2], null, s22, v5, v[1:2]
	s_delay_alu instid0(VALU_DEP_1)
	v_add3_u32 v2, v6, v2, v4
	s_wait_alu 0xfffe
	s_cbranch_vccnz .LBB0_9
; %bb.7:                                ;   in Loop: Header=BB0_2 Depth=1
	v_dual_mov_b32 v5, v7 :: v_dual_mov_b32 v6, v8
	s_branch .LBB0_2
.LBB0_8:
	v_dual_mov_b32 v8, v6 :: v_dual_mov_b32 v7, v5
.LBB0_9:
	s_lshl_b64 s[2:3], s[6:7], 3
	v_mul_hi_u32 v3, 0x253c826, v0
	s_wait_alu 0xfffe
	s_add_nc_u64 s[2:3], s[12:13], s[2:3]
	v_dual_mov_b32 v6, 0 :: v_dual_mov_b32 v25, 0
	s_load_b64 s[2:3], s[2:3], 0x0
	s_load_b64 s[0:1], s[0:1], 0x20
                                        ; implicit-def: $vgpr18
                                        ; implicit-def: $vgpr12
                                        ; implicit-def: $vgpr14
                                        ; implicit-def: $vgpr24
                                        ; implicit-def: $vgpr22
                                        ; implicit-def: $vgpr20
                                        ; implicit-def: $vgpr16
                                        ; implicit-def: $vgpr10
	s_delay_alu instid0(VALU_DEP_2) | instskip(NEXT) | instid1(VALU_DEP_1)
	v_mul_u32_u24_e32 v3, 0x6e, v3
	v_sub_nc_u32_e32 v0, v0, v3
	s_wait_kmcnt 0x0
	v_mul_lo_u32 v4, s2, v8
	v_mul_lo_u32 v5, s3, v7
	v_mad_co_u64_u32 v[1:2], null, s2, v7, v[1:2]
	v_cmp_gt_u64_e32 vcc_lo, s[0:1], v[7:8]
                                        ; implicit-def: $vgpr8
	s_delay_alu instid0(VALU_DEP_2)
	v_add3_u32 v2, v5, v2, v4
	v_mov_b32_e32 v5, 0
                                        ; implicit-def: $vgpr4
	s_and_saveexec_b32 s1, vcc_lo
	s_cbranch_execz .LBB0_13
; %bb.10:
	v_dual_mov_b32 v5, 0 :: v_dual_mov_b32 v6, 0
	s_mov_b32 s2, exec_lo
                                        ; implicit-def: $vgpr9
                                        ; implicit-def: $vgpr15
                                        ; implicit-def: $vgpr19
                                        ; implicit-def: $vgpr21
                                        ; implicit-def: $vgpr23
                                        ; implicit-def: $vgpr7
                                        ; implicit-def: $vgpr13
                                        ; implicit-def: $vgpr11
                                        ; implicit-def: $vgpr17
                                        ; implicit-def: $vgpr3
	v_cmpx_gt_u32_e32 0x46, v0
	s_cbranch_execz .LBB0_12
; %bb.11:
	v_add_nc_u32_e32 v17, 0xd2, v0
	v_mad_co_u64_u32 v[3:4], null, s8, v0, 0
	v_add_nc_u32_e32 v16, 0x8c, v0
	v_add_nc_u32_e32 v18, 0x15e, v0
	s_delay_alu instid0(VALU_DEP_4) | instskip(SKIP_1) | instid1(VALU_DEP_4)
	v_mad_co_u64_u32 v[12:13], null, s8, v17, 0
	v_add_nc_u32_e32 v14, 0x46, v0
	v_mad_co_u64_u32 v[7:8], null, s8, v16, 0
	v_add_nc_u32_e32 v22, 0x1a4, v0
	v_add_nc_u32_e32 v34, 0x276, v0
	s_delay_alu instid0(VALU_DEP_4) | instskip(NEXT) | instid1(VALU_DEP_2)
	v_mad_co_u64_u32 v[5:6], null, s8, v14, 0
	v_mad_co_u64_u32 v[27:28], null, s8, v34, 0
	s_delay_alu instid0(VALU_DEP_2) | instskip(NEXT) | instid1(VALU_DEP_3)
	v_mad_co_u64_u32 v[9:10], null, s9, v0, v[4:5]
	v_mov_b32_e32 v4, v6
	v_lshlrev_b64_e32 v[10:11], 3, v[1:2]
	v_mov_b32_e32 v6, v8
	s_delay_alu instid0(VALU_DEP_3) | instskip(NEXT) | instid1(VALU_DEP_3)
	v_mad_co_u64_u32 v[14:15], null, s9, v14, v[4:5]
	v_add_co_u32 v32, s0, s10, v10
	v_mov_b32_e32 v4, v9
	s_wait_alu 0xf1ff
	v_add_co_ci_u32_e64 v33, s0, s11, v11, s0
	v_mad_co_u64_u32 v[10:11], null, s9, v16, v[6:7]
	v_dual_mov_b32 v9, v13 :: v_dual_mov_b32 v6, v14
	v_lshlrev_b64_e32 v[3:4], 3, v[3:4]
	v_add_nc_u32_e32 v16, 0x118, v0
	s_delay_alu instid0(VALU_DEP_3)
	v_lshlrev_b64_e32 v[5:6], 3, v[5:6]
	v_mov_b32_e32 v8, v10
	v_mad_co_u64_u32 v[9:10], null, s9, v17, v[9:10]
	v_add_co_u32 v3, s0, v32, v3
	v_mad_co_u64_u32 v[14:15], null, s8, v16, 0
	s_wait_alu 0xf1ff
	v_add_co_ci_u32_e64 v4, s0, v33, v4, s0
	v_add_co_u32 v10, s0, v32, v5
	s_wait_alu 0xf1ff
	v_add_co_ci_u32_e64 v11, s0, v33, v6, s0
	v_mov_b32_e32 v13, v9
	v_lshlrev_b64_e32 v[5:6], 3, v[7:8]
	v_mad_co_u64_u32 v[8:9], null, s8, v18, 0
	v_mov_b32_e32 v7, v15
	s_delay_alu instid0(VALU_DEP_4) | instskip(NEXT) | instid1(VALU_DEP_2)
	v_lshlrev_b64_e32 v[12:13], 3, v[12:13]
	v_mad_co_u64_u32 v[15:16], null, s9, v16, v[7:8]
	v_add_co_u32 v16, s0, v32, v5
	s_wait_alu 0xf1ff
	v_add_co_ci_u32_e64 v17, s0, v33, v6, s0
	v_mov_b32_e32 v5, v9
	v_add_co_u32 v12, s0, v32, v12
	s_wait_alu 0xf1ff
	v_add_co_ci_u32_e64 v13, s0, v33, v13, s0
	s_delay_alu instid0(VALU_DEP_3)
	v_mad_co_u64_u32 v[19:20], null, s9, v18, v[5:6]
	s_clause 0x3
	global_load_b64 v[5:6], v[3:4], off
	global_load_b64 v[3:4], v[10:11], off
	;; [unrolled: 1-line block ×4, first 2 shown]
	v_mad_co_u64_u32 v[20:21], null, s8, v22, 0
	v_add_nc_u32_e32 v10, 0x1ea, v0
	v_lshlrev_b64_e32 v[13:14], 3, v[14:15]
	v_mov_b32_e32 v9, v19
	v_add_nc_u32_e32 v19, 0x230, v0
	s_delay_alu instid0(VALU_DEP_4) | instskip(SKIP_4) | instid1(VALU_DEP_3)
	v_mad_co_u64_u32 v[15:16], null, s8, v10, 0
	v_mov_b32_e32 v7, v21
	v_add_co_u32 v13, s0, v32, v13
	s_wait_alu 0xf1ff
	v_add_co_ci_u32_e64 v14, s0, v33, v14, s0
	v_mad_co_u64_u32 v[21:22], null, s9, v22, v[7:8]
	v_mad_co_u64_u32 v[22:23], null, s8, v19, 0
	v_lshlrev_b64_e32 v[8:9], 3, v[8:9]
	v_mov_b32_e32 v7, v16
	s_delay_alu instid0(VALU_DEP_1) | instskip(NEXT) | instid1(VALU_DEP_4)
	v_mad_co_u64_u32 v[24:25], null, s9, v10, v[7:8]
	v_mov_b32_e32 v7, v23
	v_add_nc_u32_e32 v25, 0x2bc, v0
	s_delay_alu instid0(VALU_DEP_2) | instskip(NEXT) | instid1(VALU_DEP_4)
	v_mad_co_u64_u32 v[29:30], null, s9, v19, v[7:8]
	v_mov_b32_e32 v16, v24
	s_delay_alu instid0(VALU_DEP_3)
	v_mad_co_u64_u32 v[30:31], null, s8, v25, 0
	v_add_co_u32 v7, s0, v32, v8
	s_wait_alu 0xf1ff
	v_add_co_ci_u32_e64 v8, s0, v33, v9, s0
	v_mov_b32_e32 v9, v28
	v_mov_b32_e32 v23, v29
	v_lshlrev_b64_e32 v[19:20], 3, v[20:21]
	v_lshlrev_b64_e32 v[15:16], 3, v[15:16]
	s_delay_alu instid0(VALU_DEP_4) | instskip(SKIP_1) | instid1(VALU_DEP_4)
	v_mad_co_u64_u32 v[9:10], null, s9, v34, v[9:10]
	v_mov_b32_e32 v10, v31
	v_add_co_u32 v19, s0, v32, v19
	v_lshlrev_b64_e32 v[21:22], 3, v[22:23]
	s_wait_alu 0xf1ff
	v_add_co_ci_u32_e64 v20, s0, v33, v20, s0
	v_mov_b32_e32 v28, v9
	v_add_co_u32 v15, s0, v32, v15
	s_wait_alu 0xf1ff
	v_add_co_ci_u32_e64 v16, s0, v33, v16, s0
	v_add_co_u32 v21, s0, v32, v21
	s_wait_alu 0xf1ff
	v_add_co_ci_u32_e64 v22, s0, v33, v22, s0
	s_wait_loadcnt 0x0
	v_mad_co_u64_u32 v[24:25], null, s9, v25, v[10:11]
	v_lshlrev_b64_e32 v[9:10], 3, v[27:28]
	s_delay_alu instid0(VALU_DEP_2) | instskip(NEXT) | instid1(VALU_DEP_2)
	v_mov_b32_e32 v31, v24
	v_add_co_u32 v27, s0, v32, v9
	s_wait_alu 0xf1ff
	s_delay_alu instid0(VALU_DEP_3) | instskip(NEXT) | instid1(VALU_DEP_3)
	v_add_co_ci_u32_e64 v28, s0, v33, v10, s0
	v_lshlrev_b64_e32 v[23:24], 3, v[30:31]
	s_delay_alu instid0(VALU_DEP_1) | instskip(SKIP_1) | instid1(VALU_DEP_2)
	v_add_co_u32 v23, s0, v32, v23
	s_wait_alu 0xf1ff
	v_add_co_ci_u32_e64 v24, s0, v33, v24, s0
	s_clause 0x6
	global_load_b64 v[13:14], v[13:14], off
	global_load_b64 v[7:8], v[7:8], off
	;; [unrolled: 1-line block ×7, first 2 shown]
.LBB0_12:
	s_wait_alu 0xfffe
	s_or_b32 exec_lo, exec_lo, s2
	v_mov_b32_e32 v25, v0
.LBB0_13:
	s_wait_alu 0xfffe
	s_or_b32 exec_lo, exec_lo, s1
	v_dual_add_f32 v27, v5, v3 :: v_dual_and_b32 v26, 1, v26
	s_wait_loadcnt 0x0
	v_dual_add_f32 v29, v6, v4 :: v_dual_add_f32 v28, v3, v23
	v_dual_sub_f32 v31, v3, v23 :: v_dual_sub_f32 v32, v4, v24
	s_delay_alu instid0(VALU_DEP_2) | instskip(SKIP_1) | instid1(VALU_DEP_3)
	v_dual_add_f32 v27, v27, v17 :: v_dual_add_f32 v30, v29, v18
	v_add_f32_e32 v29, v4, v24
	v_mul_f32_e32 v47, 0xbe903f40, v31
	v_cmp_eq_u32_e64 s0, 1, v26
	s_delay_alu instid0(VALU_DEP_4) | instskip(SKIP_1) | instid1(VALU_DEP_2)
	v_dual_add_f32 v3, v27, v11 :: v_dual_add_f32 v4, v30, v12
	v_dual_mul_f32 v27, 0xbf0a6770, v32 :: v_dual_mul_f32 v30, 0xbf0a6770, v31
	v_dual_mul_f32 v34, 0xbf68dda4, v31 :: v_dual_add_f32 v3, v3, v13
	s_delay_alu instid0(VALU_DEP_3) | instskip(NEXT) | instid1(VALU_DEP_3)
	v_add_f32_e32 v4, v4, v14
	v_fma_f32 v37, 0x3f575c64, v28, -v27
	s_wait_alu 0xf1ff
	v_cndmask_b32_e64 v26, 0, 0x302, s0
	s_mov_b32 s1, exec_lo
	v_dual_add_f32 v3, v3, v7 :: v_dual_add_f32 v4, v4, v8
	v_mul_f32_e32 v33, 0x3ed4b147, v28
	v_dual_mul_f32 v36, 0xbf7d64f0, v31 :: v_dual_add_f32 v37, v5, v37
	s_delay_alu instid0(VALU_DEP_3) | instskip(SKIP_2) | instid1(VALU_DEP_3)
	v_dual_add_f32 v3, v3, v9 :: v_dual_add_f32 v4, v4, v10
	v_fmamk_f32 v38, v29, 0x3f575c64, v30
	v_dual_sub_f32 v52, v17, v21 :: v_dual_sub_f32 v51, v18, v22
	v_dual_add_f32 v3, v15, v3 :: v_dual_add_f32 v4, v16, v4
	v_fmamk_f32 v40, v29, 0x3ed4b147, v34
	s_delay_alu instid0(VALU_DEP_4) | instskip(NEXT) | instid1(VALU_DEP_3)
	v_dual_mul_f32 v35, 0xbe11bafb, v28 :: v_dual_add_f32 v38, v6, v38
	v_dual_add_f32 v3, v19, v3 :: v_dual_add_f32 v4, v20, v4
	v_fmamk_f32 v39, v32, 0x3f68dda4, v33
	v_fmac_f32_e32 v33, 0xbf68dda4, v32
	v_fma_f32 v34, 0x3ed4b147, v29, -v34
	v_dual_fmamk_f32 v41, v32, 0x3f7d64f0, v35 :: v_dual_add_f32 v40, v6, v40
	v_dual_add_f32 v4, v22, v4 :: v_dual_add_f32 v3, v21, v3
	s_delay_alu instid0(VALU_DEP_3) | instskip(SKIP_1) | instid1(VALU_DEP_3)
	v_dual_add_f32 v42, v5, v33 :: v_dual_add_f32 v43, v6, v34
	v_fma_f32 v33, 0xbe11bafb, v29, -v36
	v_dual_add_f32 v4, v24, v4 :: v_dual_add_f32 v3, v23, v3
	v_fmamk_f32 v24, v29, 0xbe11bafb, v36
	s_delay_alu instid0(VALU_DEP_3) | instskip(SKIP_2) | instid1(VALU_DEP_3)
	v_dual_mul_f32 v23, 0xbf27a4f4, v28 :: v_dual_add_f32 v44, v6, v33
	v_add_f32_e32 v41, v5, v41
	v_dual_add_f32 v39, v5, v39 :: v_dual_lshlrev_b32 v26, 3, v26
	v_fmamk_f32 v34, v32, 0x3f4178ce, v23
	v_dual_mul_f32 v36, 0xbf4178ce, v31 :: v_dual_fmac_f32 v23, 0xbf4178ce, v32
	s_delay_alu instid0(VALU_DEP_2) | instskip(NEXT) | instid1(VALU_DEP_2)
	v_dual_mul_f32 v46, 0xbf75a155, v28 :: v_dual_add_f32 v45, v5, v34
	v_fma_f32 v33, 0xbf27a4f4, v29, -v36
	s_delay_alu instid0(VALU_DEP_3) | instskip(SKIP_1) | instid1(VALU_DEP_4)
	v_add_f32_e32 v23, v5, v23
	v_fmamk_f32 v31, v29, 0xbf27a4f4, v36
	v_fmamk_f32 v34, v32, 0x3e903f40, v46
	s_delay_alu instid0(VALU_DEP_4) | instskip(SKIP_1) | instid1(VALU_DEP_3)
	v_dual_fmamk_f32 v36, v29, 0xbf75a155, v47 :: v_dual_add_f32 v49, v6, v33
	v_dual_fmac_f32 v46, 0xbe903f40, v32 :: v_dual_add_f32 v33, v17, v21
	v_dual_fmac_f32 v35, 0xbf7d64f0, v32 :: v_dual_add_f32 v50, v5, v34
	v_add_f32_e32 v34, v18, v22
	v_add_f32_e32 v48, v6, v31
	v_dual_mul_f32 v31, 0xbf68dda4, v51 :: v_dual_mul_f32 v32, 0xbf68dda4, v52
	v_dual_add_f32 v17, v5, v46 :: v_dual_mul_f32 v18, 0xbf27a4f4, v33
	v_add_f32_e32 v36, v6, v36
	v_fma_f32 v21, 0xbf75a155, v29, -v47
	s_delay_alu instid0(VALU_DEP_4)
	v_fma_f32 v22, 0x3ed4b147, v33, -v31
	v_mul_f32_e32 v47, 0xbf4178ce, v52
	v_fmamk_f32 v53, v51, 0x3f4178ce, v18
	v_fmamk_f32 v46, v34, 0x3ed4b147, v32
	v_dual_add_f32 v24, v6, v24 :: v_dual_add_f32 v35, v5, v35
	v_dual_add_f32 v21, v6, v21 :: v_dual_fmac_f32 v18, 0xbf4178ce, v51
	v_dual_add_f32 v22, v37, v22 :: v_dual_fmamk_f32 v37, v34, 0xbf27a4f4, v47
	s_delay_alu instid0(VALU_DEP_4) | instskip(SKIP_2) | instid1(VALU_DEP_4)
	v_dual_add_f32 v39, v39, v53 :: v_dual_add_f32 v46, v38, v46
	v_fma_f32 v47, 0xbf27a4f4, v34, -v47
	v_mul_f32_e32 v38, 0xbf75a155, v33
	v_dual_add_f32 v40, v40, v37 :: v_dual_mul_f32 v37, 0x3e903f40, v52
	s_delay_alu instid0(VALU_DEP_3) | instskip(SKIP_1) | instid1(VALU_DEP_4)
	v_dual_add_f32 v18, v42, v18 :: v_dual_add_f32 v43, v43, v47
	v_mul_f32_e32 v47, 0xbe11bafb, v33
	v_fmamk_f32 v42, v51, 0xbe903f40, v38
	s_delay_alu instid0(VALU_DEP_4) | instskip(SKIP_2) | instid1(VALU_DEP_4)
	v_fmamk_f32 v53, v34, 0xbf75a155, v37
	v_fmac_f32_e32 v38, 0x3e903f40, v51
	v_fma_f32 v37, 0xbf75a155, v34, -v37
	v_dual_add_f32 v41, v41, v42 :: v_dual_fmamk_f32 v42, v51, 0xbf7d64f0, v47
	s_delay_alu instid0(VALU_DEP_2) | instskip(NEXT) | instid1(VALU_DEP_4)
	v_add_f32_e32 v44, v44, v37
	v_dual_add_f32 v24, v24, v53 :: v_dual_add_f32 v53, v35, v38
	s_delay_alu instid0(VALU_DEP_3) | instskip(SKIP_1) | instid1(VALU_DEP_1)
	v_dual_mul_f32 v35, 0x3f7d64f0, v52 :: v_dual_add_f32 v42, v45, v42
	v_mul_f32_e32 v52, 0x3f0a6770, v52
	v_dual_mul_f32 v45, 0x3f575c64, v33 :: v_dual_fmamk_f32 v54, v34, 0x3f575c64, v52
	s_delay_alu instid0(VALU_DEP_3) | instskip(SKIP_2) | instid1(VALU_DEP_4)
	v_fmamk_f32 v37, v34, 0xbe11bafb, v35
	v_fmac_f32_e32 v47, 0x3f7d64f0, v51
	v_fma_f32 v35, 0xbe11bafb, v34, -v35
	v_fmamk_f32 v38, v51, 0xbf0a6770, v45
	s_delay_alu instid0(VALU_DEP_3) | instskip(NEXT) | instid1(VALU_DEP_3)
	v_add_f32_e32 v23, v23, v47
	v_add_f32_e32 v47, v49, v35
	s_delay_alu instid0(VALU_DEP_3)
	v_add_f32_e32 v49, v50, v38
	v_add_f32_e32 v50, v36, v54
	v_sub_f32_e32 v54, v12, v20
	v_add_f32_e32 v38, v11, v19
	v_add_f32_e32 v48, v48, v37
	;; [unrolled: 1-line block ×3, first 2 shown]
	s_delay_alu instid0(VALU_DEP_4) | instskip(NEXT) | instid1(VALU_DEP_4)
	v_mul_f32_e32 v35, 0xbf7d64f0, v54
	v_dual_sub_f32 v55, v11, v19 :: v_dual_mul_f32 v12, 0xbf75a155, v38
	s_delay_alu instid0(VALU_DEP_2) | instskip(NEXT) | instid1(VALU_DEP_2)
	v_fma_f32 v19, 0xbe11bafb, v38, -v35
	v_mul_f32_e32 v36, 0xbf7d64f0, v55
	s_delay_alu instid0(VALU_DEP_1) | instskip(SKIP_3) | instid1(VALU_DEP_3)
	v_dual_add_f32 v19, v22, v19 :: v_dual_fmamk_f32 v20, v37, 0xbe11bafb, v36
	v_fmac_f32_e32 v45, 0x3f0a6770, v51
	v_fmamk_f32 v51, v54, 0xbe903f40, v12
	v_fmac_f32_e32 v12, 0x3e903f40, v54
	v_dual_add_f32 v20, v46, v20 :: v_dual_add_f32 v11, v17, v45
	v_fma_f32 v17, 0x3f575c64, v34, -v52
	v_mul_f32_e32 v45, 0x3e903f40, v55
	v_add_f32_e32 v22, v39, v51
	v_add_f32_e32 v12, v18, v12
	s_delay_alu instid0(VALU_DEP_4) | instskip(NEXT) | instid1(VALU_DEP_4)
	v_dual_mul_f32 v52, 0xbf27a4f4, v38 :: v_dual_add_f32 v17, v21, v17
	v_fmamk_f32 v21, v37, 0xbf75a155, v45
	v_fma_f32 v45, 0xbf75a155, v37, -v45
	s_delay_alu instid0(VALU_DEP_2) | instskip(SKIP_1) | instid1(VALU_DEP_2)
	v_dual_add_f32 v21, v40, v21 :: v_dual_mul_f32 v40, 0x3f68dda4, v55
	v_mul_f32_e32 v39, 0x3ed4b147, v38
	v_dual_add_f32 v43, v43, v45 :: v_dual_fmamk_f32 v46, v37, 0x3ed4b147, v40
	s_delay_alu instid0(VALU_DEP_2) | instskip(SKIP_2) | instid1(VALU_DEP_4)
	v_fmamk_f32 v18, v54, 0xbf68dda4, v39
	v_fma_f32 v40, 0x3ed4b147, v37, -v40
	v_fmac_f32_e32 v39, 0x3f68dda4, v54
	v_add_f32_e32 v24, v24, v46
	s_delay_alu instid0(VALU_DEP_4) | instskip(NEXT) | instid1(VALU_DEP_4)
	v_add_f32_e32 v18, v41, v18
	v_dual_add_f32 v44, v44, v40 :: v_dual_mul_f32 v45, 0x3f575c64, v38
	s_delay_alu instid0(VALU_DEP_4) | instskip(SKIP_3) | instid1(VALU_DEP_3)
	v_add_f32_e32 v46, v53, v39
	v_mul_f32_e32 v39, 0xbf0a6770, v55
	v_mul_f32_e32 v53, 0xbf4178ce, v55
	v_sub_f32_e32 v55, v13, v15
	v_fmamk_f32 v40, v37, 0x3f575c64, v39
	v_fmamk_f32 v41, v54, 0x3f0a6770, v45
	v_fmac_f32_e32 v45, 0xbf0a6770, v54
	v_fma_f32 v39, 0x3f575c64, v37, -v39
	s_delay_alu instid0(VALU_DEP_2) | instskip(NEXT) | instid1(VALU_DEP_4)
	v_dual_add_f32 v23, v23, v45 :: v_dual_add_f32 v48, v48, v40
	v_add_f32_e32 v51, v42, v41
	v_fmamk_f32 v41, v54, 0x3f4178ce, v52
	s_delay_alu instid0(VALU_DEP_4) | instskip(SKIP_1) | instid1(VALU_DEP_3)
	v_dual_fmamk_f32 v42, v37, 0xbf27a4f4, v53 :: v_dual_add_f32 v45, v47, v39
	v_fmac_f32_e32 v52, 0xbf4178ce, v54
	v_dual_mul_f32 v40, 0xbf4178ce, v55 :: v_dual_add_f32 v47, v49, v41
	s_delay_alu instid0(VALU_DEP_3)
	v_dual_add_f32 v49, v50, v42 :: v_dual_add_f32 v42, v13, v15
	v_add_f32_e32 v41, v14, v16
	v_sub_f32_e32 v50, v14, v16
	v_add_f32_e32 v11, v11, v52
	v_fma_f32 v14, 0xbf27a4f4, v37, -v53
	v_mul_f32_e32 v13, 0xbe11bafb, v42
	v_fmamk_f32 v16, v41, 0xbf27a4f4, v40
	s_delay_alu instid0(VALU_DEP_2) | instskip(NEXT) | instid1(VALU_DEP_2)
	v_dual_add_f32 v14, v17, v14 :: v_dual_fmamk_f32 v53, v50, 0xbf7d64f0, v13
	v_dual_add_f32 v16, v20, v16 :: v_dual_fmac_f32 v13, 0x3f7d64f0, v50
	v_mul_f32_e32 v20, 0x3f575c64, v42
	s_delay_alu instid0(VALU_DEP_2) | instskip(NEXT) | instid1(VALU_DEP_2)
	v_dual_mul_f32 v52, 0x3f7d64f0, v55 :: v_dual_add_f32 v13, v12, v13
	v_fmamk_f32 v12, v50, 0x3f0a6770, v20
	v_mul_f32_e32 v39, 0xbf4178ce, v50
	v_fmac_f32_e32 v20, 0xbf0a6770, v50
	s_delay_alu instid0(VALU_DEP_3) | instskip(NEXT) | instid1(VALU_DEP_3)
	v_dual_fmamk_f32 v17, v41, 0xbe11bafb, v52 :: v_dual_add_f32 v18, v18, v12
	v_fma_f32 v15, 0xbf27a4f4, v42, -v39
	s_delay_alu instid0(VALU_DEP_2) | instskip(SKIP_2) | instid1(VALU_DEP_4)
	v_dual_add_f32 v20, v46, v20 :: v_dual_add_f32 v17, v21, v17
	v_mul_f32_e32 v21, 0xbf0a6770, v55
	v_mul_f32_e32 v46, 0xbe903f40, v55
	v_add_f32_e32 v15, v19, v15
	v_add_f32_e32 v19, v22, v53
	v_fma_f32 v22, 0xbe11bafb, v41, -v52
	v_fmamk_f32 v52, v41, 0x3f575c64, v21
	v_fma_f32 v12, 0x3f575c64, v41, -v21
	s_delay_alu instid0(VALU_DEP_3) | instskip(NEXT) | instid1(VALU_DEP_3)
	v_add_f32_e32 v22, v43, v22
	v_dual_mul_f32 v43, 0xbf75a155, v42 :: v_dual_add_f32 v24, v24, v52
	s_delay_alu instid0(VALU_DEP_3) | instskip(SKIP_2) | instid1(VALU_DEP_4)
	v_add_f32_e32 v52, v44, v12
	v_fmamk_f32 v44, v41, 0xbf75a155, v46
	v_fma_f32 v46, 0xbf75a155, v41, -v46
	v_fmamk_f32 v21, v50, 0x3e903f40, v43
	v_fmac_f32_e32 v43, 0xbe903f40, v50
	v_mul_f32_e32 v12, 0x3ed4b147, v42
	s_delay_alu instid0(VALU_DEP_3) | instskip(NEXT) | instid1(VALU_DEP_3)
	v_dual_add_f32 v48, v48, v44 :: v_dual_add_f32 v21, v51, v21
	v_add_f32_e32 v23, v23, v43
	v_mul_f32_e32 v51, 0x3f68dda4, v55
	s_delay_alu instid0(VALU_DEP_4) | instskip(SKIP_3) | instid1(VALU_DEP_4)
	v_fmamk_f32 v53, v50, 0xbf68dda4, v12
	v_add_f32_e32 v55, v45, v46
	v_fmac_f32_e32 v12, 0x3f68dda4, v50
	v_add_f32_e32 v46, v8, v10
	v_dual_fmamk_f32 v54, v41, 0x3ed4b147, v51 :: v_dual_add_f32 v47, v47, v53
	s_delay_alu instid0(VALU_DEP_3) | instskip(NEXT) | instid1(VALU_DEP_2)
	v_dual_sub_f32 v53, v8, v10 :: v_dual_add_f32 v50, v11, v12
	v_dual_add_f32 v49, v49, v54 :: v_dual_sub_f32 v54, v7, v9
	v_add_f32_e32 v45, v7, v9
	v_fma_f32 v7, 0x3ed4b147, v41, -v51
	s_delay_alu instid0(VALU_DEP_3) | instskip(NEXT) | instid1(VALU_DEP_2)
	v_mul_f32_e32 v44, 0xbe903f40, v54
	v_dual_mul_f32 v8, 0x3f575c64, v45 :: v_dual_add_f32 v51, v14, v7
	v_mul_f32_e32 v12, 0x3f0a6770, v54
	s_delay_alu instid0(VALU_DEP_3) | instskip(NEXT) | instid1(VALU_DEP_2)
	v_fmamk_f32 v10, v46, 0xbf75a155, v44
	v_fma_f32 v14, 0x3f575c64, v46, -v12
	s_delay_alu instid0(VALU_DEP_2) | instskip(NEXT) | instid1(VALU_DEP_1)
	v_dual_fmamk_f32 v7, v53, 0xbf0a6770, v8 :: v_dual_add_f32 v10, v16, v10
	v_add_f32_e32 v11, v19, v7
	v_fmamk_f32 v7, v46, 0x3f575c64, v12
	s_delay_alu instid0(VALU_DEP_1) | instskip(SKIP_2) | instid1(VALU_DEP_2)
	v_dual_mul_f32 v19, 0xbf4178ce, v54 :: v_dual_add_f32 v12, v17, v7
	v_mul_f32_e32 v43, 0xbe903f40, v53
	v_fmac_f32_e32 v8, 0x3f0a6770, v53
	v_fma_f32 v9, 0xbf75a155, v45, -v43
	s_delay_alu instid0(VALU_DEP_2) | instskip(NEXT) | instid1(VALU_DEP_2)
	v_dual_add_f32 v7, v13, v8 :: v_dual_add_f32 v8, v22, v14
	v_dual_fmamk_f32 v14, v46, 0xbf27a4f4, v19 :: v_dual_add_f32 v9, v15, v9
	s_delay_alu instid0(VALU_DEP_1) | instskip(SKIP_1) | instid1(VALU_DEP_2)
	v_dual_mul_f32 v15, 0xbf27a4f4, v45 :: v_dual_add_f32 v14, v24, v14
	v_mul_f32_e32 v24, 0xbe11bafb, v45
	v_fmamk_f32 v16, v53, 0x3f4178ce, v15
	v_fmac_f32_e32 v15, 0xbf4178ce, v53
	s_delay_alu instid0(VALU_DEP_3) | instskip(NEXT) | instid1(VALU_DEP_3)
	v_fmamk_f32 v22, v53, 0x3f7d64f0, v24
	v_dual_fmac_f32 v24, 0xbf7d64f0, v53 :: v_dual_add_f32 v13, v18, v16
	v_mul_f32_e32 v18, 0x3f68dda4, v54
	v_mul_f32_e32 v17, 0x3ed4b147, v45
	v_fma_f32 v16, 0xbf27a4f4, v46, -v19
	s_delay_alu instid0(VALU_DEP_3) | instskip(SKIP_1) | instid1(VALU_DEP_4)
	v_dual_add_f32 v15, v20, v15 :: v_dual_fmamk_f32 v20, v46, 0x3ed4b147, v18
	v_fma_f32 v18, 0x3ed4b147, v46, -v18
	v_fmamk_f32 v19, v53, 0xbf68dda4, v17
	s_delay_alu instid0(VALU_DEP_4) | instskip(NEXT) | instid1(VALU_DEP_4)
	v_dual_fmac_f32 v17, 0x3f68dda4, v53 :: v_dual_add_f32 v16, v52, v16
	v_add_f32_e32 v20, v48, v20
	s_delay_alu instid0(VALU_DEP_3) | instskip(SKIP_1) | instid1(VALU_DEP_4)
	v_dual_add_f32 v18, v55, v18 :: v_dual_add_f32 v19, v21, v19
	v_mul_f32_e32 v21, 0xbf7d64f0, v54
	v_add_f32_e32 v17, v23, v17
	s_delay_alu instid0(VALU_DEP_2) | instskip(SKIP_1) | instid1(VALU_DEP_2)
	v_fmamk_f32 v23, v46, 0xbe11bafb, v21
	v_fma_f32 v48, 0xbe11bafb, v46, -v21
	v_dual_add_f32 v21, v47, v22 :: v_dual_add_f32 v22, v49, v23
	v_add_f32_e32 v23, v50, v24
	s_delay_alu instid0(VALU_DEP_3)
	v_add_f32_e32 v24, v51, v48
	v_cmpx_gt_u32_e32 0x46, v0
	s_cbranch_execz .LBB0_15
; %bb.14:
	v_dual_mul_f32 v29, 0x3f575c64, v29 :: v_dual_mul_f32 v28, 0x3f575c64, v28
	v_dual_mul_f32 v33, 0x3ed4b147, v33 :: v_dual_mul_f32 v34, 0x3ed4b147, v34
	v_mul_f32_e32 v38, 0xbe11bafb, v38
	s_delay_alu instid0(VALU_DEP_3) | instskip(NEXT) | instid1(VALU_DEP_4)
	v_dual_sub_f32 v29, v29, v30 :: v_dual_mul_f32 v30, 0xbe11bafb, v37
	v_dual_add_f32 v27, v27, v28 :: v_dual_mul_f32 v28, 0xbf27a4f4, v42
	s_delay_alu instid0(VALU_DEP_4) | instskip(NEXT) | instid1(VALU_DEP_3)
	v_sub_f32_e32 v32, v34, v32
	v_add_f32_e32 v6, v6, v29
	v_add_f32_e32 v29, v31, v33
	;; [unrolled: 1-line block ×4, first 2 shown]
	v_dual_mul_f32 v27, 0xbf27a4f4, v41 :: v_dual_sub_f32 v30, v30, v36
	v_add_f32_e32 v6, v6, v32
	s_delay_alu instid0(VALU_DEP_3) | instskip(SKIP_1) | instid1(VALU_DEP_3)
	v_dual_add_f32 v28, v39, v28 :: v_dual_add_f32 v5, v5, v29
	v_mul_f32_e32 v29, 0xbf75a155, v46
	v_dual_sub_f32 v27, v27, v40 :: v_dual_add_f32 v6, v6, v30
	s_delay_alu instid0(VALU_DEP_3) | instskip(SKIP_1) | instid1(VALU_DEP_3)
	v_dual_mul_f32 v30, 0xbf75a155, v45 :: v_dual_add_f32 v5, v5, v31
	v_mul_u32_u24_e32 v31, 0x58, v0
	v_dual_add_f32 v6, v6, v27 :: v_dual_sub_f32 v27, v29, v44
	s_delay_alu instid0(VALU_DEP_3) | instskip(NEXT) | instid1(VALU_DEP_3)
	v_dual_add_f32 v5, v5, v28 :: v_dual_add_f32 v28, v43, v30
	v_add3_u32 v29, 0, v31, v26
	s_delay_alu instid0(VALU_DEP_2)
	v_dual_add_f32 v6, v6, v27 :: v_dual_add_f32 v5, v5, v28
	ds_store_2addr_b64 v29, v[3:4], v[9:10] offset1:1
	ds_store_2addr_b64 v29, v[11:12], v[13:14] offset0:2 offset1:3
	ds_store_2addr_b64 v29, v[19:20], v[21:22] offset0:4 offset1:5
	;; [unrolled: 1-line block ×4, first 2 shown]
	ds_store_b64 v29, v[5:6] offset:80
.LBB0_15:
	s_wait_alu 0xfffe
	s_or_b32 exec_lo, exec_lo, s1
	v_cmp_gt_u32_e64 s0, 0x4d, v0
	v_lshlrev_b32_e32 v5, 3, v0
	global_wb scope:SCOPE_SE
	s_wait_dscnt 0x0
	s_barrier_signal -1
	s_barrier_wait -1
	global_inv scope:SCOPE_SE
	s_and_saveexec_b32 s1, s0
	s_cbranch_execz .LBB0_17
; %bb.16:
	v_add3_u32 v6, 0, v5, v26
	s_delay_alu instid0(VALU_DEP_1)
	v_add_nc_u32_e32 v3, 0x1000, v6
	ds_load_2addr_b64 v[9:12], v6 offset0:77 offset1:154
	ds_load_2addr_b64 v[13:16], v3 offset0:27 offset1:104
	v_add_nc_u32_e32 v4, 0x800, v6
	v_add_nc_u32_e32 v3, 0x400, v6
	s_wait_dscnt 0x0
	v_mov_b32_e32 v17, v13
	ds_load_2addr_b64 v[19:22], v4 offset0:129 offset1:206
	ds_load_2addr_b64 v[27:30], v3 offset0:103 offset1:180
	v_add3_u32 v3, 0, v26, v5
	v_mov_b32_e32 v18, v14
	ds_load_b64 v[3:4], v3
	ds_load_b64 v[7:8], v6 offset:5544
	s_wait_dscnt 0x3
	v_dual_mov_b32 v24, v22 :: v_dual_mov_b32 v23, v21
	v_dual_mov_b32 v22, v20 :: v_dual_mov_b32 v21, v19
	s_wait_dscnt 0x2
	v_dual_mov_b32 v20, v30 :: v_dual_mov_b32 v19, v29
	v_dual_mov_b32 v14, v28 :: v_dual_mov_b32 v13, v27
.LBB0_17:
	s_wait_alu 0xfffe
	s_or_b32 exec_lo, exec_lo, s1
	global_wb scope:SCOPE_SE
	s_wait_dscnt 0x0
	s_barrier_signal -1
	s_barrier_wait -1
	global_inv scope:SCOPE_SE
	s_and_saveexec_b32 s1, s0
	s_cbranch_execz .LBB0_19
; %bb.18:
	v_and_b32_e32 v6, 0xff, v0
	s_delay_alu instid0(VALU_DEP_1) | instskip(NEXT) | instid1(VALU_DEP_1)
	v_mul_lo_u16 v6, 0x75, v6
	v_lshrrev_b16 v6, 8, v6
	s_delay_alu instid0(VALU_DEP_1) | instskip(NEXT) | instid1(VALU_DEP_1)
	v_sub_nc_u16 v27, v0, v6
	v_lshrrev_b16 v27, 1, v27
	s_delay_alu instid0(VALU_DEP_1) | instskip(NEXT) | instid1(VALU_DEP_1)
	v_and_b32_e32 v27, 0x7f, v27
	v_add_nc_u16 v6, v27, v6
	s_delay_alu instid0(VALU_DEP_1) | instskip(NEXT) | instid1(VALU_DEP_1)
	v_lshrrev_b16 v6, 3, v6
	v_mul_lo_u16 v27, v6, 11
	s_delay_alu instid0(VALU_DEP_1) | instskip(NEXT) | instid1(VALU_DEP_1)
	v_sub_nc_u16 v27, v0, v27
	v_and_b32_e32 v45, 0xff, v27
	s_delay_alu instid0(VALU_DEP_1) | instskip(NEXT) | instid1(VALU_DEP_1)
	v_mul_u32_u24_e32 v27, 9, v45
	v_lshlrev_b32_e32 v43, 3, v27
	s_clause 0x4
	global_load_b128 v[27:30], v43, s[4:5]
	global_load_b128 v[31:34], v43, s[4:5] offset:16
	global_load_b128 v[35:38], v43, s[4:5] offset:48
	;; [unrolled: 1-line block ×3, first 2 shown]
	global_load_b64 v[43:44], v43, s[4:5] offset:64
	s_wait_loadcnt 0x4
	v_dual_mul_f32 v53, v10, v28 :: v_dual_and_b32 v6, 0xffff, v6
	s_wait_loadcnt 0x3
	v_mul_f32_e32 v49, v14, v32
	s_delay_alu instid0(VALU_DEP_2)
	v_mad_u32_u24 v6, 0x370, v6, 0
	v_dual_mul_f32 v46, v19, v34 :: v_dual_lshlrev_b32 v45, 3, v45
	v_mul_f32_e32 v34, v20, v34
	s_wait_loadcnt 0x1
	v_dual_mul_f32 v47, v15, v38 :: v_dual_mul_f32 v50, v22, v40
	v_mul_f32_e32 v48, v23, v42
	v_add3_u32 v45, v6, v45, v26
	s_delay_alu instid0(VALU_DEP_3) | instskip(SKIP_3) | instid1(VALU_DEP_4)
	v_dual_mul_f32 v6, v11, v30 :: v_dual_fmac_f32 v47, v16, v37
	v_fmac_f32_e32 v46, v20, v33
	v_mul_f32_e32 v42, v24, v42
	v_fmac_f32_e32 v48, v24, v41
	v_fmac_f32_e32 v6, v12, v29
	v_mul_f32_e32 v32, v13, v32
	v_fma_f32 v13, v13, v31, -v49
	v_mul_f32_e32 v30, v12, v30
	v_fma_f32 v12, v19, v33, -v34
	v_fma_f32 v19, v21, v39, -v50
	v_mul_f32_e32 v52, v18, v36
	v_mul_f32_e32 v40, v21, v40
	;; [unrolled: 1-line block ×3, first 2 shown]
	s_delay_alu instid0(VALU_DEP_4) | instskip(NEXT) | instid1(VALU_DEP_4)
	v_sub_f32_e32 v21, v13, v19
	v_fma_f32 v17, v17, v35, -v52
	v_mul_f32_e32 v38, v16, v38
	v_fma_f32 v16, v23, v41, -v42
	v_fma_f32 v11, v11, v29, -v30
	s_delay_alu instid0(VALU_DEP_4) | instskip(NEXT) | instid1(VALU_DEP_4)
	v_add_f32_e32 v23, v19, v17
	v_fma_f32 v15, v15, v37, -v38
	v_sub_f32_e32 v37, v48, v47
	v_dual_fmac_f32 v40, v22, v39 :: v_dual_sub_f32 v39, v19, v13
	v_fmac_f32_e32 v36, v18, v35
	v_sub_f32_e32 v35, v46, v6
	s_wait_loadcnt 0x0
	v_dual_mul_f32 v51, v8, v44 :: v_dual_fmac_f32 v32, v14, v31
	v_mul_f32_e32 v44, v7, v44
	v_sub_f32_e32 v52, v11, v12
	v_sub_f32_e32 v56, v12, v11
	s_delay_alu instid0(VALU_DEP_4) | instskip(SKIP_2) | instid1(VALU_DEP_3)
	v_fma_f32 v7, v7, v43, -v51
	v_sub_f32_e32 v57, v16, v15
	v_sub_f32_e32 v31, v19, v17
	;; [unrolled: 1-line block ×4, first 2 shown]
	v_dual_mul_f32 v28, v9, v28 :: v_dual_add_f32 v51, v4, v6
	v_fma_f32 v9, v9, v27, -v53
	v_sub_f32_e32 v14, v12, v16
	v_sub_f32_e32 v53, v15, v16
	;; [unrolled: 1-line block ×3, first 2 shown]
	v_add_f32_e32 v58, v11, v15
	v_add_f32_e32 v11, v3, v11
	v_dual_fmac_f32 v44, v8, v43 :: v_dual_sub_f32 v55, v46, v48
	v_add_f32_e32 v20, v46, v48
	v_add_f32_e32 v42, v13, v7
	;; [unrolled: 1-line block ×3, first 2 shown]
	s_delay_alu instid0(VALU_DEP_4)
	v_dual_sub_f32 v49, v36, v44 :: v_dual_sub_f32 v8, v6, v46
	v_sub_f32_e32 v43, v40, v32
	v_dual_sub_f32 v29, v32, v40 :: v_dual_fmac_f32 v28, v10, v27
	v_sub_f32_e32 v27, v40, v36
	v_sub_f32_e32 v10, v47, v48
	;; [unrolled: 1-line block ×4, first 2 shown]
	v_add_f32_e32 v34, v40, v36
	s_delay_alu instid0(VALU_DEP_4)
	v_add_f32_e32 v8, v8, v10
	v_fma_f32 v10, -0.5, v20, v4
	v_sub_f32_e32 v30, v44, v36
	v_add_f32_e32 v20, v21, v22
	v_fma_f32 v21, -0.5, v23, v9
	v_fma_f32 v23, -0.5, v34, v28
	v_add_f32_e32 v54, v12, v16
	v_dual_add_f32 v22, v29, v30 :: v_dual_add_f32 v29, v35, v37
	v_add_f32_e32 v35, v51, v46
	v_add_f32_e32 v34, v43, v49
	s_delay_alu instid0(VALU_DEP_2) | instskip(SKIP_1) | instid1(VALU_DEP_2)
	v_dual_add_f32 v35, v35, v48 :: v_dual_add_f32 v38, v6, v47
	v_sub_f32_e32 v6, v6, v47
	v_fma_f32 v30, -0.5, v38, v4
	v_add_f32_e32 v50, v32, v44
	v_add_f32_e32 v32, v28, v32
	;; [unrolled: 1-line block ×3, first 2 shown]
	v_fma_f32 v38, -0.5, v54, v3
	v_fmamk_f32 v41, v14, 0xbf737871, v30
	v_fma_f32 v28, -0.5, v50, v28
	v_add_f32_e32 v39, v56, v57
	s_delay_alu instid0(VALU_DEP_2) | instskip(SKIP_3) | instid1(VALU_DEP_4)
	v_dual_fmamk_f32 v43, v31, 0xbf737871, v28 :: v_dual_add_f32 v32, v32, v40
	v_fma_f32 v40, -0.5, v58, v3
	v_add_f32_e32 v3, v11, v12
	v_add_f32_e32 v11, v13, v19
	v_fmac_f32_e32 v43, 0x3f167918, v33
	v_fmamk_f32 v13, v33, 0x3f737871, v23
	v_fma_f32 v9, -0.5, v42, v9
	v_fmamk_f32 v46, v55, 0x3f737871, v40
	v_dual_fmac_f32 v40, 0xbf737871, v55 :: v_dual_add_f32 v3, v3, v16
	v_add_f32_e32 v11, v11, v17
	v_fmac_f32_e32 v13, 0x3f167918, v31
	v_fmamk_f32 v12, v24, 0xbf737871, v21
	v_fmac_f32_e32 v23, 0xbf737871, v33
	v_fmac_f32_e32 v21, 0x3f737871, v24
	v_dual_add_f32 v11, v11, v7 :: v_dual_add_f32 v32, v32, v36
	v_fmamk_f32 v36, v6, 0xbf737871, v38
	v_fmac_f32_e32 v38, 0x3f737871, v6
	v_fmac_f32_e32 v46, 0xbf167918, v6
	;; [unrolled: 1-line block ×3, first 2 shown]
	v_dual_add_f32 v6, v3, v15 :: v_dual_fmac_f32 v13, 0x3e9e377a, v22
	v_fmamk_f32 v42, v27, 0x3f737871, v9
	v_fmac_f32_e32 v9, 0xbf737871, v27
	v_add_f32_e32 v37, v52, v53
	s_delay_alu instid0(VALU_DEP_4) | instskip(SKIP_4) | instid1(VALU_DEP_4)
	v_sub_f32_e32 v3, v6, v11
	v_fmamk_f32 v19, v18, 0x3f737871, v10
	v_fmac_f32_e32 v10, 0xbf737871, v18
	v_fmac_f32_e32 v23, 0xbf167918, v31
	v_dual_fmac_f32 v21, 0x3f167918, v27 :: v_dual_add_f32 v16, v32, v44
	v_fmac_f32_e32 v19, 0x3f167918, v14
	v_fmac_f32_e32 v30, 0x3f737871, v14
	;; [unrolled: 1-line block ×3, first 2 shown]
	v_dual_add_f32 v14, v35, v47 :: v_dual_fmac_f32 v41, 0x3f167918, v18
	s_delay_alu instid0(VALU_DEP_4) | instskip(SKIP_1) | instid1(VALU_DEP_4)
	v_fmac_f32_e32 v19, 0x3e9e377a, v8
	v_fmac_f32_e32 v12, 0xbf167918, v27
	v_dual_fmac_f32 v10, 0x3e9e377a, v8 :: v_dual_fmac_f32 v23, 0x3e9e377a, v22
	v_mul_f32_e32 v8, 0x3f4f1bbd, v13
	v_fmac_f32_e32 v9, 0x3f167918, v24
	s_delay_alu instid0(VALU_DEP_4) | instskip(SKIP_2) | instid1(VALU_DEP_3)
	v_dual_fmac_f32 v12, 0x3e9e377a, v20 :: v_dual_fmac_f32 v41, 0x3e9e377a, v29
	v_dual_add_f32 v7, v14, v16 :: v_dual_fmac_f32 v30, 0xbf167918, v18
	v_fmac_f32_e32 v42, 0xbf167918, v24
	v_fma_f32 v18, 0xbf167918, v12, -v8
	v_fmac_f32_e32 v28, 0x3f737871, v31
	s_delay_alu instid0(VALU_DEP_4) | instskip(NEXT) | instid1(VALU_DEP_4)
	v_dual_fmac_f32 v9, 0x3e9e377a, v4 :: v_dual_fmac_f32 v30, 0x3e9e377a, v29
	v_dual_fmac_f32 v42, 0x3e9e377a, v4 :: v_dual_fmac_f32 v43, 0x3e9e377a, v34
	s_delay_alu instid0(VALU_DEP_3) | instskip(SKIP_3) | instid1(VALU_DEP_4)
	v_fmac_f32_e32 v28, 0xbf167918, v33
	v_fmac_f32_e32 v21, 0x3e9e377a, v20
	v_sub_f32_e32 v4, v14, v16
	v_dual_add_f32 v6, v6, v11 :: v_dual_mul_f32 v15, 0x3f4f1bbd, v12
	v_dual_fmac_f32 v28, 0x3e9e377a, v34 :: v_dual_mul_f32 v11, 0x3e9e377a, v43
	s_delay_alu instid0(VALU_DEP_4)
	v_mul_f32_e32 v16, 0xbf167918, v21
	v_mul_f32_e32 v24, 0x3f167918, v23
	;; [unrolled: 1-line block ×4, first 2 shown]
	v_fma_f32 v22, 0xbf737871, v42, -v11
	v_fmac_f32_e32 v16, 0x3f4f1bbd, v23
	v_mul_f32_e32 v20, 0x3f737871, v28
	v_fmac_f32_e32 v24, 0x3f4f1bbd, v21
	s_delay_alu instid0(VALU_DEP_4) | instskip(NEXT) | instid1(VALU_DEP_4)
	v_dual_fmac_f32 v46, 0x3e9e377a, v39 :: v_dual_sub_f32 v11, v41, v22
	v_dual_fmac_f32 v36, 0xbf167918, v55 :: v_dual_add_f32 v23, v10, v16
	v_fmac_f32_e32 v38, 0x3f167918, v55
	v_fmac_f32_e32 v40, 0x3e9e377a, v39
	;; [unrolled: 1-line block ×3, first 2 shown]
	s_delay_alu instid0(VALU_DEP_4)
	v_fmac_f32_e32 v36, 0x3e9e377a, v37
	v_fma_f32 v28, 0x3f737871, v43, -v17
	v_fmac_f32_e32 v38, 0x3e9e377a, v37
	v_fmac_f32_e32 v20, 0x3e9e377a, v9
	v_fma_f32 v27, 0x3f167918, v13, -v15
	v_sub_f32_e32 v9, v19, v18
	v_add_f32_e32 v17, v19, v18
	v_dual_add_f32 v19, v41, v22 :: v_dual_add_f32 v22, v38, v24
	v_dual_sub_f32 v12, v40, v20 :: v_dual_add_f32 v21, v30, v14
	v_add_f32_e32 v18, v46, v28
	v_add_f32_e32 v20, v40, v20
	v_dual_sub_f32 v15, v10, v16 :: v_dual_add_f32 v16, v36, v27
	v_sub_f32_e32 v13, v30, v14
	v_sub_f32_e32 v14, v38, v24
	;; [unrolled: 1-line block ×4, first 2 shown]
	ds_store_2addr_b64 v45, v[6:7], v[22:23] offset1:11
	ds_store_2addr_b64 v45, v[20:21], v[18:19] offset0:22 offset1:33
	ds_store_2addr_b64 v45, v[16:17], v[3:4] offset0:44 offset1:55
	ds_store_2addr_b64 v45, v[14:15], v[12:13] offset0:66 offset1:77
	ds_store_2addr_b64 v45, v[10:11], v[8:9] offset0:88 offset1:99
.LBB0_19:
	s_wait_alu 0xfffe
	s_or_b32 exec_lo, exec_lo, s1
	global_wb scope:SCOPE_SE
	s_wait_dscnt 0x0
	s_barrier_signal -1
	s_barrier_wait -1
	global_inv scope:SCOPE_SE
	s_and_saveexec_b32 s0, vcc_lo
	s_cbranch_execz .LBB0_21
; %bb.20:
	v_add_nc_u32_e32 v43, 0x1b8, v25
	v_mul_u32_u24_e32 v0, 6, v0
	v_add3_u32 v21, 0, v26, v5
	v_add3_u32 v20, 0, v5, v26
	v_add_nc_u32_e32 v45, 0x294, v25
	v_mad_co_u64_u32 v[34:35], null, s8, v43, 0
	v_add_nc_u32_e32 v42, 0x14a, v25
	v_mad_co_u64_u32 v[4:5], null, s8, v25, 0
	v_lshlrev_b64_e32 v[18:19], 3, v[1:2]
	v_mad_co_u64_u32 v[38:39], null, s8, v45, 0
	s_delay_alu instid0(VALU_DEP_4)
	v_mad_co_u64_u32 v[32:33], null, s8, v42, 0
	v_add_nc_u32_e32 v41, 0xdc, v25
	v_add_nc_u32_e32 v22, 0x1000, v20
	v_add_co_u32 v47, vcc_lo, s10, v18
	v_add_nc_u32_e32 v46, 0x800, v20
	s_wait_alu 0xfffd
	v_add_co_ci_u32_e32 v48, vcc_lo, s11, v19, vcc_lo
	v_mov_b32_e32 v24, v33
	v_mad_co_u64_u32 v[30:31], null, s8, v41, 0
	v_add_nc_u32_e32 v40, 0x6e, v25
	v_add_nc_u32_e32 v44, 0x226, v25
	s_delay_alu instid0(VALU_DEP_2)
	v_mad_co_u64_u32 v[28:29], null, s8, v40, 0
	v_lshlrev_b32_e32 v0, 3, v0
	s_clause 0x2
	global_load_b128 v[6:9], v0, s[4:5] offset:792
	global_load_b128 v[10:13], v0, s[4:5] offset:824
	;; [unrolled: 1-line block ×3, first 2 shown]
	ds_load_b64 v[26:27], v21
	ds_load_2addr_b64 v[0:3], v20 offset0:110 offset1:220
	ds_load_2addr_b64 v[18:21], v22 offset0:38 offset1:148
	v_mad_co_u64_u32 v[36:37], null, s8, v44, 0
	s_wait_loadcnt 0x2
	v_mad_co_u64_u32 v[22:23], null, s9, v25, v[5:6]
	v_mov_b32_e32 v5, v29
	v_mov_b32_e32 v23, v31
	;; [unrolled: 1-line block ×5, first 2 shown]
	v_mad_co_u64_u32 v[39:40], null, s9, v40, v[5:6]
	v_mad_co_u64_u32 v[40:41], null, s9, v41, v[23:24]
	v_mad_co_u64_u32 v[41:42], null, s9, v42, v[24:25]
	s_wait_dscnt 0x2
	v_mad_co_u64_u32 v[42:43], null, s9, v43, v[25:26]
	v_mov_b32_e32 v5, v22
	ds_load_2addr_b64 v[22:25], v46 offset0:74 offset1:184
	v_mad_co_u64_u32 v[43:44], null, s9, v44, v[29:30]
	v_mad_co_u64_u32 v[44:45], null, s9, v45, v[31:32]
	s_wait_dscnt 0x2
	v_dual_mov_b32 v31, v40 :: v_dual_mul_f32 v40, v7, v1
	v_mul_f32_e32 v1, v6, v1
	v_mov_b32_e32 v29, v39
	s_wait_loadcnt_dscnt 0x101
	v_mul_f32_e32 v45, v11, v19
	v_mul_f32_e32 v19, v10, v19
	v_fma_f32 v6, v6, v0, -v40
	v_mov_b32_e32 v37, v43
	v_fmac_f32_e32 v1, v7, v0
	v_fma_f32 v10, v10, v18, -v45
	v_fmac_f32_e32 v19, v11, v18
	v_lshlrev_b64_e32 v[4:5], 3, v[4:5]
	v_lshlrev_b64_e32 v[30:31], 3, v[30:31]
	s_wait_loadcnt_dscnt 0x0
	v_mul_f32_e32 v43, v15, v23
	v_mul_f32_e32 v23, v14, v23
	s_delay_alu instid0(VALU_DEP_4)
	v_add_co_u32 v4, vcc_lo, v47, v4
	s_wait_alu 0xfffd
	v_add_co_ci_u32_e32 v5, vcc_lo, v48, v5, vcc_lo
	v_fma_f32 v14, v14, v22, -v43
	v_dual_mov_b32 v35, v42 :: v_dual_mul_f32 v42, v17, v25
	v_mul_f32_e32 v25, v16, v25
	v_fmac_f32_e32 v23, v15, v22
	v_lshlrev_b64_e32 v[28:29], 3, v[28:29]
	s_delay_alu instid0(VALU_DEP_4) | instskip(NEXT) | instid1(VALU_DEP_4)
	v_fma_f32 v16, v16, v24, -v42
	v_fmac_f32_e32 v25, v17, v24
	v_dual_mov_b32 v39, v44 :: v_dual_mul_f32 v44, v9, v3
	v_mov_b32_e32 v33, v41
	v_mul_f32_e32 v3, v8, v3
	v_add_co_u32 v28, vcc_lo, v47, v28
	s_delay_alu instid0(VALU_DEP_4) | instskip(SKIP_1) | instid1(VALU_DEP_4)
	v_fma_f32 v8, v8, v2, -v44
	v_mul_f32_e32 v41, v13, v21
	v_fmac_f32_e32 v3, v9, v2
	v_sub_f32_e32 v2, v16, v14
	v_lshlrev_b64_e32 v[32:33], 3, v[32:33]
	v_sub_f32_e32 v7, v8, v10
	v_mul_f32_e32 v21, v12, v21
	v_add_f32_e32 v8, v8, v10
	v_fma_f32 v12, v12, v20, -v41
	s_wait_alu 0xfffd
	v_add_co_ci_u32_e32 v29, vcc_lo, v48, v29, vcc_lo
	v_sub_f32_e32 v15, v2, v7
	v_add_co_u32 v30, vcc_lo, v47, v30
	v_sub_f32_e32 v0, v6, v12
	v_add_f32_e32 v6, v6, v12
	v_add_f32_e32 v12, v16, v14
	v_lshlrev_b64_e32 v[34:35], 3, v[34:35]
	s_wait_alu 0xfffd
	v_add_co_ci_u32_e32 v31, vcc_lo, v48, v31, vcc_lo
	v_sub_f32_e32 v14, v0, v2
	v_dual_add_f32 v2, v2, v7 :: v_dual_sub_f32 v7, v7, v0
	v_lshlrev_b64_e32 v[36:37], 3, v[36:37]
	v_add_co_u32 v32, vcc_lo, v47, v32
	s_delay_alu instid0(VALU_DEP_3)
	v_add_f32_e32 v2, v0, v2
	v_sub_f32_e32 v10, v25, v23
	v_fmac_f32_e32 v21, v13, v20
	v_sub_f32_e32 v20, v12, v8
	s_wait_alu 0xfffd
	v_add_co_ci_u32_e32 v33, vcc_lo, v48, v33, vcc_lo
	v_lshlrev_b64_e32 v[38:39], 3, v[38:39]
	v_add_f32_e32 v9, v1, v21
	v_sub_f32_e32 v1, v1, v21
	v_add_f32_e32 v21, v6, v8
	v_add_f32_e32 v13, v3, v19
	v_sub_f32_e32 v3, v3, v19
	v_dual_sub_f32 v19, v6, v12 :: v_dual_sub_f32 v6, v8, v6
	v_mul_f32_e32 v8, 0xbf08b237, v15
	v_dual_add_f32 v12, v12, v21 :: v_dual_add_f32 v11, v25, v23
	v_mul_f32_e32 v21, 0x3f5ff5aa, v7
	v_add_co_u32 v34, vcc_lo, v47, v34
	s_delay_alu instid0(VALU_DEP_3)
	v_add_f32_e32 v0, v12, v26
	v_fmamk_f32 v24, v14, 0x3eae86e6, v8
	v_fma_f32 v7, 0x3f5ff5aa, v7, -v8
	v_sub_f32_e32 v16, v9, v11
	v_fma_f32 v14, 0xbeae86e6, v14, -v21
	v_dual_fmamk_f32 v8, v12, 0xbf955555, v0 :: v_dual_sub_f32 v23, v10, v3
	v_fmac_f32_e32 v24, 0x3ee1c552, v2
	v_sub_f32_e32 v22, v1, v10
	v_add_f32_e32 v10, v10, v3
	v_fmac_f32_e32 v14, 0x3ee1c552, v2
	v_fmac_f32_e32 v7, 0x3ee1c552, v2
	s_wait_alu 0xfffd
	v_add_co_ci_u32_e32 v35, vcc_lo, v48, v35, vcc_lo
	v_add_f32_e32 v10, v1, v10
	v_add_f32_e32 v18, v9, v13
	v_sub_f32_e32 v17, v11, v13
	v_sub_f32_e32 v9, v13, v9
	v_add_co_u32 v36, vcc_lo, v47, v36
	s_delay_alu instid0(VALU_DEP_4) | instskip(SKIP_4) | instid1(VALU_DEP_3)
	v_dual_add_f32 v11, v11, v18 :: v_dual_mul_f32 v18, 0x3d64c772, v20
	v_mul_f32_e32 v20, 0xbf08b237, v23
	s_wait_alu 0xfffd
	v_add_co_ci_u32_e32 v37, vcc_lo, v48, v37, vcc_lo
	v_add_co_u32 v38, vcc_lo, v47, v38
	v_fmamk_f32 v25, v22, 0x3eae86e6, v20
	s_wait_alu 0xfffd
	v_add_co_ci_u32_e32 v39, vcc_lo, v48, v39, vcc_lo
	s_delay_alu instid0(VALU_DEP_2) | instskip(SKIP_2) | instid1(VALU_DEP_2)
	v_fmac_f32_e32 v25, 0x3ee1c552, v10
	v_sub_f32_e32 v3, v3, v1
	v_add_f32_e32 v1, v11, v27
	v_mul_f32_e32 v23, 0x3f5ff5aa, v3
	global_store_b64 v[4:5], v[0:1], off
	v_fma_f32 v21, 0xbeae86e6, v22, -v23
	s_delay_alu instid0(VALU_DEP_1) | instskip(SKIP_2) | instid1(VALU_DEP_2)
	v_fmac_f32_e32 v21, 0x3ee1c552, v10
	v_mul_f32_e32 v13, 0x3f4a47b2, v16
	v_mul_f32_e32 v15, 0x3d64c772, v17
	v_fma_f32 v13, 0xbf3bfb3b, v9, -v13
	s_delay_alu instid0(VALU_DEP_2) | instskip(SKIP_3) | instid1(VALU_DEP_1)
	v_fmamk_f32 v16, v16, 0x3f4a47b2, v15
	v_fma_f32 v9, 0x3f3bfb3b, v9, -v15
	v_fma_f32 v15, 0x3f5ff5aa, v3, -v20
	v_fmamk_f32 v3, v11, 0xbf955555, v1
	v_dual_fmac_f32 v15, 0x3ee1c552, v10 :: v_dual_add_f32 v10, v13, v3
	v_mul_f32_e32 v17, 0x3f4a47b2, v19
	v_dual_fmamk_f32 v19, v19, 0x3f4a47b2, v18 :: v_dual_add_f32 v2, v16, v3
	v_add_f32_e32 v9, v9, v3
	s_delay_alu instid0(VALU_DEP_4) | instskip(NEXT) | instid1(VALU_DEP_4)
	v_add_f32_e32 v3, v14, v10
	v_fma_f32 v17, 0xbf3bfb3b, v6, -v17
	v_fma_f32 v6, 0x3f3bfb3b, v6, -v18
	s_delay_alu instid0(VALU_DEP_4) | instskip(NEXT) | instid1(VALU_DEP_3)
	v_dual_add_f32 v4, v19, v8 :: v_dual_sub_f32 v5, v9, v7
	v_dual_add_f32 v7, v7, v9 :: v_dual_add_f32 v12, v17, v8
	s_delay_alu instid0(VALU_DEP_3)
	v_add_f32_e32 v13, v6, v8
	v_sub_f32_e32 v9, v10, v14
	v_sub_f32_e32 v11, v2, v24
	v_add_f32_e32 v10, v25, v4
	v_add_f32_e32 v8, v21, v12
	v_sub_f32_e32 v6, v13, v15
	v_sub_f32_e32 v0, v4, v25
	v_dual_add_f32 v4, v15, v13 :: v_dual_add_f32 v1, v24, v2
	v_sub_f32_e32 v2, v12, v21
	s_clause 0x5
	global_store_b64 v[28:29], v[10:11], off
	global_store_b64 v[30:31], v[8:9], off
	;; [unrolled: 1-line block ×6, first 2 shown]
.LBB0_21:
	s_nop 0
	s_sendmsg sendmsg(MSG_DEALLOC_VGPRS)
	s_endpgm
	.section	.rodata,"a",@progbits
	.p2align	6, 0x0
	.amdhsa_kernel fft_rtc_fwd_len770_factors_11_10_7_wgs_220_tpt_110_sp_ip_CI_sbrr_dirReg
		.amdhsa_group_segment_fixed_size 0
		.amdhsa_private_segment_fixed_size 0
		.amdhsa_kernarg_size 88
		.amdhsa_user_sgpr_count 2
		.amdhsa_user_sgpr_dispatch_ptr 0
		.amdhsa_user_sgpr_queue_ptr 0
		.amdhsa_user_sgpr_kernarg_segment_ptr 1
		.amdhsa_user_sgpr_dispatch_id 0
		.amdhsa_user_sgpr_private_segment_size 0
		.amdhsa_wavefront_size32 1
		.amdhsa_uses_dynamic_stack 0
		.amdhsa_enable_private_segment 0
		.amdhsa_system_sgpr_workgroup_id_x 1
		.amdhsa_system_sgpr_workgroup_id_y 0
		.amdhsa_system_sgpr_workgroup_id_z 0
		.amdhsa_system_sgpr_workgroup_info 0
		.amdhsa_system_vgpr_workitem_id 0
		.amdhsa_next_free_vgpr 59
		.amdhsa_next_free_sgpr 35
		.amdhsa_reserve_vcc 1
		.amdhsa_float_round_mode_32 0
		.amdhsa_float_round_mode_16_64 0
		.amdhsa_float_denorm_mode_32 3
		.amdhsa_float_denorm_mode_16_64 3
		.amdhsa_fp16_overflow 0
		.amdhsa_workgroup_processor_mode 1
		.amdhsa_memory_ordered 1
		.amdhsa_forward_progress 0
		.amdhsa_round_robin_scheduling 0
		.amdhsa_exception_fp_ieee_invalid_op 0
		.amdhsa_exception_fp_denorm_src 0
		.amdhsa_exception_fp_ieee_div_zero 0
		.amdhsa_exception_fp_ieee_overflow 0
		.amdhsa_exception_fp_ieee_underflow 0
		.amdhsa_exception_fp_ieee_inexact 0
		.amdhsa_exception_int_div_zero 0
	.end_amdhsa_kernel
	.text
.Lfunc_end0:
	.size	fft_rtc_fwd_len770_factors_11_10_7_wgs_220_tpt_110_sp_ip_CI_sbrr_dirReg, .Lfunc_end0-fft_rtc_fwd_len770_factors_11_10_7_wgs_220_tpt_110_sp_ip_CI_sbrr_dirReg
                                        ; -- End function
	.section	.AMDGPU.csdata,"",@progbits
; Kernel info:
; codeLenInByte = 7348
; NumSgprs: 37
; NumVgprs: 59
; ScratchSize: 0
; MemoryBound: 0
; FloatMode: 240
; IeeeMode: 1
; LDSByteSize: 0 bytes/workgroup (compile time only)
; SGPRBlocks: 4
; VGPRBlocks: 7
; NumSGPRsForWavesPerEU: 37
; NumVGPRsForWavesPerEU: 59
; Occupancy: 16
; WaveLimiterHint : 1
; COMPUTE_PGM_RSRC2:SCRATCH_EN: 0
; COMPUTE_PGM_RSRC2:USER_SGPR: 2
; COMPUTE_PGM_RSRC2:TRAP_HANDLER: 0
; COMPUTE_PGM_RSRC2:TGID_X_EN: 1
; COMPUTE_PGM_RSRC2:TGID_Y_EN: 0
; COMPUTE_PGM_RSRC2:TGID_Z_EN: 0
; COMPUTE_PGM_RSRC2:TIDIG_COMP_CNT: 0
	.text
	.p2alignl 7, 3214868480
	.fill 96, 4, 3214868480
	.type	__hip_cuid_3e8f1d50f5fef326,@object ; @__hip_cuid_3e8f1d50f5fef326
	.section	.bss,"aw",@nobits
	.globl	__hip_cuid_3e8f1d50f5fef326
__hip_cuid_3e8f1d50f5fef326:
	.byte	0                               ; 0x0
	.size	__hip_cuid_3e8f1d50f5fef326, 1

	.ident	"AMD clang version 19.0.0git (https://github.com/RadeonOpenCompute/llvm-project roc-6.4.0 25133 c7fe45cf4b819c5991fe208aaa96edf142730f1d)"
	.section	".note.GNU-stack","",@progbits
	.addrsig
	.addrsig_sym __hip_cuid_3e8f1d50f5fef326
	.amdgpu_metadata
---
amdhsa.kernels:
  - .args:
      - .actual_access:  read_only
        .address_space:  global
        .offset:         0
        .size:           8
        .value_kind:     global_buffer
      - .offset:         8
        .size:           8
        .value_kind:     by_value
      - .actual_access:  read_only
        .address_space:  global
        .offset:         16
        .size:           8
        .value_kind:     global_buffer
      - .actual_access:  read_only
        .address_space:  global
        .offset:         24
        .size:           8
        .value_kind:     global_buffer
      - .offset:         32
        .size:           8
        .value_kind:     by_value
      - .actual_access:  read_only
        .address_space:  global
        .offset:         40
        .size:           8
        .value_kind:     global_buffer
      - .actual_access:  read_only
        .address_space:  global
        .offset:         48
        .size:           8
        .value_kind:     global_buffer
      - .offset:         56
        .size:           4
        .value_kind:     by_value
      - .actual_access:  read_only
        .address_space:  global
        .offset:         64
        .size:           8
        .value_kind:     global_buffer
      - .actual_access:  read_only
        .address_space:  global
        .offset:         72
        .size:           8
        .value_kind:     global_buffer
      - .address_space:  global
        .offset:         80
        .size:           8
        .value_kind:     global_buffer
    .group_segment_fixed_size: 0
    .kernarg_segment_align: 8
    .kernarg_segment_size: 88
    .language:       OpenCL C
    .language_version:
      - 2
      - 0
    .max_flat_workgroup_size: 220
    .name:           fft_rtc_fwd_len770_factors_11_10_7_wgs_220_tpt_110_sp_ip_CI_sbrr_dirReg
    .private_segment_fixed_size: 0
    .sgpr_count:     37
    .sgpr_spill_count: 0
    .symbol:         fft_rtc_fwd_len770_factors_11_10_7_wgs_220_tpt_110_sp_ip_CI_sbrr_dirReg.kd
    .uniform_work_group_size: 1
    .uses_dynamic_stack: false
    .vgpr_count:     59
    .vgpr_spill_count: 0
    .wavefront_size: 32
    .workgroup_processor_mode: 1
amdhsa.target:   amdgcn-amd-amdhsa--gfx1201
amdhsa.version:
  - 1
  - 2
...

	.end_amdgpu_metadata
